;; amdgpu-corpus repo=ROCm/flash-attention kind=compiled arch=gfx950 opt=O3
	.amdgcn_target "amdgcn-amd-amdhsa--gfx950"
	.amdhsa_code_object_version 6
	.section	.text._ZN7ck_tileL11flush_cacheEv,"axG",@progbits,_ZN7ck_tileL11flush_cacheEv,comdat
	.globl	_ZN7ck_tileL11flush_cacheEv     ; -- Begin function _ZN7ck_tileL11flush_cacheEv
	.p2align	8
	.type	_ZN7ck_tileL11flush_cacheEv,@function
_ZN7ck_tileL11flush_cacheEv:            ; @_ZN7ck_tileL11flush_cacheEv
; %bb.0:
	;;#ASMSTART
	s_icache_inv 
	s_nop 0 
	s_nop 0 
	;; [unrolled: 1-line block ×16, first 2 shown]
	
	;;#ASMEND
	s_endpgm
	.section	.rodata,"a",@progbits
	.p2align	6, 0x0
	.amdhsa_kernel _ZN7ck_tileL11flush_cacheEv
		.amdhsa_group_segment_fixed_size 0
		.amdhsa_private_segment_fixed_size 0
		.amdhsa_kernarg_size 0
		.amdhsa_user_sgpr_count 0
		.amdhsa_user_sgpr_dispatch_ptr 0
		.amdhsa_user_sgpr_queue_ptr 0
		.amdhsa_user_sgpr_kernarg_segment_ptr 0
		.amdhsa_user_sgpr_dispatch_id 0
		.amdhsa_user_sgpr_kernarg_preload_length 0
		.amdhsa_user_sgpr_kernarg_preload_offset 0
		.amdhsa_user_sgpr_private_segment_size 0
		.amdhsa_uses_dynamic_stack 0
		.amdhsa_enable_private_segment 0
		.amdhsa_system_sgpr_workgroup_id_x 1
		.amdhsa_system_sgpr_workgroup_id_y 0
		.amdhsa_system_sgpr_workgroup_id_z 0
		.amdhsa_system_sgpr_workgroup_info 0
		.amdhsa_system_vgpr_workitem_id 0
		.amdhsa_next_free_vgpr 1
		.amdhsa_next_free_sgpr 0
		.amdhsa_accum_offset 4
		.amdhsa_reserve_vcc 0
		.amdhsa_float_round_mode_32 0
		.amdhsa_float_round_mode_16_64 0
		.amdhsa_float_denorm_mode_32 0
		.amdhsa_float_denorm_mode_16_64 3
		.amdhsa_dx10_clamp 1
		.amdhsa_ieee_mode 1
		.amdhsa_fp16_overflow 0
		.amdhsa_tg_split 0
		.amdhsa_exception_fp_ieee_invalid_op 0
		.amdhsa_exception_fp_denorm_src 0
		.amdhsa_exception_fp_ieee_div_zero 0
		.amdhsa_exception_fp_ieee_overflow 0
		.amdhsa_exception_fp_ieee_underflow 0
		.amdhsa_exception_fp_ieee_inexact 0
		.amdhsa_exception_int_div_zero 0
	.end_amdhsa_kernel
	.section	.text._ZN7ck_tileL11flush_cacheEv,"axG",@progbits,_ZN7ck_tileL11flush_cacheEv,comdat
.Lfunc_end0:
	.size	_ZN7ck_tileL11flush_cacheEv, .Lfunc_end0-_ZN7ck_tileL11flush_cacheEv
                                        ; -- End function
	.set _ZN7ck_tileL11flush_cacheEv.num_vgpr, 0
	.set _ZN7ck_tileL11flush_cacheEv.num_agpr, 0
	.set _ZN7ck_tileL11flush_cacheEv.numbered_sgpr, 0
	.set _ZN7ck_tileL11flush_cacheEv.num_named_barrier, 0
	.set _ZN7ck_tileL11flush_cacheEv.private_seg_size, 0
	.set _ZN7ck_tileL11flush_cacheEv.uses_vcc, 0
	.set _ZN7ck_tileL11flush_cacheEv.uses_flat_scratch, 0
	.set _ZN7ck_tileL11flush_cacheEv.has_dyn_sized_stack, 0
	.set _ZN7ck_tileL11flush_cacheEv.has_recursion, 0
	.set _ZN7ck_tileL11flush_cacheEv.has_indirect_call, 0
	.section	.AMDGPU.csdata,"",@progbits
; Kernel info:
; codeLenInByte = 276
; TotalNumSgprs: 6
; NumVgprs: 0
; NumAgprs: 0
; TotalNumVgprs: 0
; ScratchSize: 0
; MemoryBound: 0
; FloatMode: 192
; IeeeMode: 1
; LDSByteSize: 0 bytes/workgroup (compile time only)
; SGPRBlocks: 0
; VGPRBlocks: 0
; NumSGPRsForWavesPerEU: 6
; NumVGPRsForWavesPerEU: 1
; AccumOffset: 4
; Occupancy: 8
; WaveLimiterHint : 0
; COMPUTE_PGM_RSRC2:SCRATCH_EN: 0
; COMPUTE_PGM_RSRC2:USER_SGPR: 0
; COMPUTE_PGM_RSRC2:TRAP_HANDLER: 0
; COMPUTE_PGM_RSRC2:TGID_X_EN: 1
; COMPUTE_PGM_RSRC2:TGID_Y_EN: 0
; COMPUTE_PGM_RSRC2:TGID_Z_EN: 0
; COMPUTE_PGM_RSRC2:TIDIG_COMP_CNT: 0
; COMPUTE_PGM_RSRC3_GFX90A:ACCUM_OFFSET: 0
; COMPUTE_PGM_RSRC3_GFX90A:TG_SPLIT: 0
	.section	.text._ZN7ck_tile6kentryINS_6gfx9_tELi2ENS_21FmhaFwdAppendKVKernelINS_28BlockFmhaFwdAppendKVPipelineINS_35BlockFmhaFwdAppendKVPipelineProblemIDF16_DF16_DF16_Li64ELi64ELi128ELi128ELb1ELNS_19RotaryEmbeddingEnumE0ELb0ENS_25TileFmhaFwdAppendKVTraitsILb0ELb1ELb0ELb0ELin1EEEEENS_41BlockFmhaFwdAppendKVPipelineDefaultPolicyEEEEEJNSB_5KargsEEEENSt9enable_ifIXnt26kattr_no_packed_fp32_ops_vIT_EEvE4typeEDpT2_,"axG",@progbits,_ZN7ck_tile6kentryINS_6gfx9_tELi2ENS_21FmhaFwdAppendKVKernelINS_28BlockFmhaFwdAppendKVPipelineINS_35BlockFmhaFwdAppendKVPipelineProblemIDF16_DF16_DF16_Li64ELi64ELi128ELi128ELb1ELNS_19RotaryEmbeddingEnumE0ELb0ENS_25TileFmhaFwdAppendKVTraitsILb0ELb1ELb0ELb0ELin1EEEEENS_41BlockFmhaFwdAppendKVPipelineDefaultPolicyEEEEEJNSB_5KargsEEEENSt9enable_ifIXnt26kattr_no_packed_fp32_ops_vIT_EEvE4typeEDpT2_,comdat
	.protected	_ZN7ck_tile6kentryINS_6gfx9_tELi2ENS_21FmhaFwdAppendKVKernelINS_28BlockFmhaFwdAppendKVPipelineINS_35BlockFmhaFwdAppendKVPipelineProblemIDF16_DF16_DF16_Li64ELi64ELi128ELi128ELb1ELNS_19RotaryEmbeddingEnumE0ELb0ENS_25TileFmhaFwdAppendKVTraitsILb0ELb1ELb0ELb0ELin1EEEEENS_41BlockFmhaFwdAppendKVPipelineDefaultPolicyEEEEEJNSB_5KargsEEEENSt9enable_ifIXnt26kattr_no_packed_fp32_ops_vIT_EEvE4typeEDpT2_ ; -- Begin function _ZN7ck_tile6kentryINS_6gfx9_tELi2ENS_21FmhaFwdAppendKVKernelINS_28BlockFmhaFwdAppendKVPipelineINS_35BlockFmhaFwdAppendKVPipelineProblemIDF16_DF16_DF16_Li64ELi64ELi128ELi128ELb1ELNS_19RotaryEmbeddingEnumE0ELb0ENS_25TileFmhaFwdAppendKVTraitsILb0ELb1ELb0ELb0ELin1EEEEENS_41BlockFmhaFwdAppendKVPipelineDefaultPolicyEEEEEJNSB_5KargsEEEENSt9enable_ifIXnt26kattr_no_packed_fp32_ops_vIT_EEvE4typeEDpT2_
	.globl	_ZN7ck_tile6kentryINS_6gfx9_tELi2ENS_21FmhaFwdAppendKVKernelINS_28BlockFmhaFwdAppendKVPipelineINS_35BlockFmhaFwdAppendKVPipelineProblemIDF16_DF16_DF16_Li64ELi64ELi128ELi128ELb1ELNS_19RotaryEmbeddingEnumE0ELb0ENS_25TileFmhaFwdAppendKVTraitsILb0ELb1ELb0ELb0ELin1EEEEENS_41BlockFmhaFwdAppendKVPipelineDefaultPolicyEEEEEJNSB_5KargsEEEENSt9enable_ifIXnt26kattr_no_packed_fp32_ops_vIT_EEvE4typeEDpT2_
	.p2align	8
	.type	_ZN7ck_tile6kentryINS_6gfx9_tELi2ENS_21FmhaFwdAppendKVKernelINS_28BlockFmhaFwdAppendKVPipelineINS_35BlockFmhaFwdAppendKVPipelineProblemIDF16_DF16_DF16_Li64ELi64ELi128ELi128ELb1ELNS_19RotaryEmbeddingEnumE0ELb0ENS_25TileFmhaFwdAppendKVTraitsILb0ELb1ELb0ELb0ELin1EEEEENS_41BlockFmhaFwdAppendKVPipelineDefaultPolicyEEEEEJNSB_5KargsEEEENSt9enable_ifIXnt26kattr_no_packed_fp32_ops_vIT_EEvE4typeEDpT2_,@function
_ZN7ck_tile6kentryINS_6gfx9_tELi2ENS_21FmhaFwdAppendKVKernelINS_28BlockFmhaFwdAppendKVPipelineINS_35BlockFmhaFwdAppendKVPipelineProblemIDF16_DF16_DF16_Li64ELi64ELi128ELi128ELb1ELNS_19RotaryEmbeddingEnumE0ELb0ENS_25TileFmhaFwdAppendKVTraitsILb0ELb1ELb0ELb0ELin1EEEEENS_41BlockFmhaFwdAppendKVPipelineDefaultPolicyEEEEEJNSB_5KargsEEEENSt9enable_ifIXnt26kattr_no_packed_fp32_ops_vIT_EEvE4typeEDpT2_: ; @_ZN7ck_tile6kentryINS_6gfx9_tELi2ENS_21FmhaFwdAppendKVKernelINS_28BlockFmhaFwdAppendKVPipelineINS_35BlockFmhaFwdAppendKVPipelineProblemIDF16_DF16_DF16_Li64ELi64ELi128ELi128ELb1ELNS_19RotaryEmbeddingEnumE0ELb0ENS_25TileFmhaFwdAppendKVTraitsILb0ELb1ELb0ELb0ELin1EEEEENS_41BlockFmhaFwdAppendKVPipelineDefaultPolicyEEEEEJNSB_5KargsEEEENSt9enable_ifIXnt26kattr_no_packed_fp32_ops_vIT_EEvE4typeEDpT2_
; %bb.0:
	s_load_dwordx2 s[8:9], s[0:1], 0x88
	s_load_dwordx4 s[28:31], s[0:1], 0x38
	s_load_dword s33, s[0:1], 0x48
	s_ashr_i32 s5, s4, 31
	s_mov_b64 s[6:7], s[4:5]
	s_waitcnt lgkmcnt(0)
	s_cmp_eq_u64 s[8:9], 0
	s_cbranch_scc1 .LBB1_2
; %bb.1:
	s_lshl_b64 s[6:7], s[4:5], 2
	s_add_u32 s6, s8, s6
	s_addc_u32 s7, s9, s7
	s_load_dword s6, s[6:7], 0x0
.LBB1_2:
	s_abs_i32 s7, s33
	v_cvt_f32_u32_e32 v1, s7
	s_lshl_b32 s31, s2, 6
	s_cmp_le_i32 s28, s31
	v_rcp_iflag_f32_e32 v1, v1
	s_nop 0
	v_mul_f32_e32 v1, 0x4f7ffffe, v1
	v_cvt_u32_f32_e32 v1, v1
	s_nop 0
	v_readfirstlane_b32 s2, v1
	s_cbranch_scc1 .LBB1_28
; %bb.3:
	s_load_dwordx8 s[8:15], s[0:1], 0x8
	s_load_dwordx2 s[34:35], s[0:1], 0x28
	s_load_dwordx4 s[16:19], s[0:1], 0x50
	s_load_dwordx4 s[24:27], s[0:1], 0x64
	s_load_dwordx4 s[20:23], s[0:1], 0x78
	s_sub_i32 s0, 0, s7
	s_mul_i32 s0, s0, s2
	s_mul_hi_u32 s0, s2, s0
	s_ashr_i32 s36, s3, 31
	s_ashr_i32 s33, s33, 31
	s_abs_i32 s3, s3
	s_add_i32 s2, s2, s0
	s_lshl_b64 s[0:1], s[4:5], 2
	s_mul_hi_u32 s2, s3, s2
	s_waitcnt lgkmcnt(0)
	s_add_u32 s34, s34, s0
	s_addc_u32 s35, s35, s1
	s_mul_i32 s1, s2, s7
	s_sub_i32 s1, s3, s1
	s_xor_b32 s0, s36, s33
	s_add_i32 s3, s2, 1
	s_sub_i32 s5, s1, s7
	s_cmp_ge_u32 s1, s7
	s_cselect_b32 s2, s3, s2
	s_cselect_b32 s1, s5, s1
	s_add_i32 s3, s2, 1
	s_cmp_ge_u32 s1, s7
	s_cselect_b32 s1, s3, s2
	s_xor_b32 s1, s1, s0
	s_sub_i32 s7, s1, s0
	s_mul_hi_i32 s1, s7, s25
	s_mul_i32 s0, s7, s25
	s_lshl_b64 s[0:1], s[0:1], 1
	s_add_u32 s2, s10, s0
	s_addc_u32 s3, s11, s1
	s_add_i32 s0, s29, -1
	s_add_u32 s5, s0, 1
	s_mul_hi_i32 s1, s21, s4
	s_mul_i32 s0, s21, s4
	s_add_i32 s25, s28, -1
	s_lshl_b64 s[0:1], s[0:1], 1
	s_add_u32 s0, s2, s0
	v_readfirstlane_b32 s2, v0
	s_addc_u32 s1, s3, s1
	v_mbcnt_lo_u32_b32 v1, -1, 0
	s_lshr_b32 s2, s2, 4
	v_mbcnt_hi_u32_b32 v1, -1, v1
	s_and_b32 s2, s2, 0xffffffc
	v_lshrrev_b32_e32 v19, 4, v1
	v_lshlrev_b32_e32 v2, 3, v1
	s_add_i32 s2, s2, s31
	s_mul_i32 s10, s25, s17
	v_and_b32_e32 v18, 0x78, v2
	v_add_u32_e32 v11, s2, v19
	s_add_u32 s21, s10, s5
	v_mad_u64_u32 v[4:5], s[2:3], v11, s17, v[18:19]
	v_cmp_gt_i32_e32 vcc, s28, v11
	v_mov_b32_e32 v2, 0
	v_mov_b32_e32 v6, 0
	;; [unrolled: 1-line block ×5, first 2 shown]
	s_and_saveexec_b64 s[10:11], vcc
	s_cbranch_execz .LBB1_5
; %bb.4:
	v_lshlrev_b32_e32 v3, 1, v4
	s_lshl_b32 s2, s21, 1
	s_mov_b32 s3, 0x20000
	buffer_load_dwordx4 v[6:9], v3, s[0:3], 0 offen
.LBB1_5:
	s_or_b64 exec, exec, s[10:11]
	v_add_u32_e32 v3, 16, v11
	s_lshl_b32 s17, s17, 4
	v_add_u32_e32 v10, s17, v4
	v_cmp_gt_i32_e32 vcc, s28, v3
	v_mov_b32_e32 v3, 0
	v_mov_b32_e32 v4, 0
	;; [unrolled: 1-line block ×3, first 2 shown]
	s_and_saveexec_b64 s[10:11], vcc
	s_cbranch_execz .LBB1_7
; %bb.6:
	v_lshlrev_b32_e32 v2, 1, v10
	s_lshl_b32 s2, s21, 1
	s_mov_b32 s3, 0x20000
	buffer_load_dwordx4 v[2:5], v2, s[0:3], 0 offen
.LBB1_7:
	s_or_b64 exec, exec, s[10:11]
	v_add_u32_e32 v12, 32, v11
	v_add_u32_e32 v20, s17, v10
	v_cmp_gt_i32_e32 vcc, s28, v12
	v_mov_b32_e32 v10, 0
	v_mov_b32_e32 v14, 0
	;; [unrolled: 1-line block ×5, first 2 shown]
	s_and_saveexec_b64 s[10:11], vcc
	s_cbranch_execz .LBB1_9
; %bb.8:
	v_lshlrev_b32_e32 v12, 1, v20
	s_lshl_b32 s2, s21, 1
	s_mov_b32 s3, 0x20000
	buffer_load_dwordx4 v[14:17], v12, s[0:3], 0 offen
.LBB1_9:
	s_or_b64 exec, exec, s[10:11]
	s_load_dword s29, s[34:35], 0x0
	v_add_u32_e32 v11, 48, v11
	v_cmp_gt_i32_e32 vcc, s28, v11
	v_mov_b32_e32 v11, 0
	v_mov_b32_e32 v12, 0
	;; [unrolled: 1-line block ×3, first 2 shown]
	s_and_saveexec_b64 s[10:11], vcc
	s_cbranch_execz .LBB1_11
; %bb.10:
	v_add_lshl_u32 v10, v20, s17, 1
	s_lshl_b32 s2, s21, 1
	s_mov_b32 s3, 0x20000
	buffer_load_dwordx4 v[10:13], v10, s[0:3], 0 offen
.LBB1_11:
	s_or_b64 exec, exec, s[10:11]
	s_mul_hi_i32 s1, s7, s24
	s_mul_i32 s0, s7, s24
	s_lshl_b64 s[0:1], s[0:1], 1
	s_add_u32 s2, s8, s0
	s_addc_u32 s3, s9, s1
	s_mul_hi_i32 s1, s7, s27
	s_mul_i32 s0, s7, s27
	s_lshl_b64 s[0:1], s[0:1], 1
	s_add_u32 s8, s14, s0
	s_addc_u32 s9, s15, s1
	s_add_i32 s0, s30, -1
	s_waitcnt lgkmcnt(0)
	s_add_i32 s17, s29, s28
	s_add_u32 s21, s0, 1
	s_mul_i32 s0, s25, s19
	s_mul_hi_u32 s1, 0, s19
	s_add_u32 s24, s17, -1
	s_add_i32 s11, s1, s0
	s_mul_hi_i32 s1, s6, s20
	s_mul_i32 s0, s6, s20
	s_add_i32 s24, s24, 0
	s_lshl_b64 s[0:1], s[0:1], 1
	s_add_u32 s0, s2, s0
	s_mul_i32 s10, s16, s24
	s_addc_u32 s1, s3, s1
	s_mul_hi_i32 s3, s23, s4
	s_mul_i32 s2, s23, s4
	s_add_i32 s10, s10, s5
	s_add_i32 s20, s29, s31
	s_lshl_b64 s[2:3], s[2:3], 1
	s_add_u32 s8, s8, s2
	v_readfirstlane_b32 s2, v0
	s_addc_u32 s9, s9, s3
	s_lshr_b32 s2, s2, 4
	s_and_b32 s4, s2, 0xffffffc
	s_add_i32 s2, s4, s20
	v_add_u32_e32 v19, s2, v19
	v_mul_lo_u32 v20, v19, s16
	v_add_lshl_u32 v18, v20, v18, 1
	v_bfrev_b32_e32 v20, 1
	v_cmp_gt_i32_e32 vcc, s17, v19
	s_lshl_b32 s2, s10, 1
	s_mov_b32 s3, 0x20000
	v_cndmask_b32_e64 v21, v20, 0, vcc
	v_add_u32_e32 v21, v18, v21
	s_waitcnt vmcnt(0)
	buffer_store_dwordx4 v[6:9], v21, s[0:3], 0 offen
	s_lshl_b32 s5, s16, 5
	s_add_u32 s23, s11, s21
	v_add_u32_e32 v6, 16, v19
	v_cmp_gt_i32_e32 vcc, s17, v6
	v_add_u32_e32 v7, s5, v18
	s_nop 0
	v_cndmask_b32_e64 v6, v20, 0, vcc
	v_add_u32_e32 v6, v7, v6
	buffer_store_dwordx4 v[2:5], v6, s[0:3], 0 offen
	s_nop 1
	v_add_u32_e32 v2, 32, v19
	v_cmp_gt_i32_e32 vcc, s17, v2
	v_add_u32_e32 v3, s5, v7
	v_and_b32_e32 v7, 3, v1
	v_cndmask_b32_e64 v2, v20, 0, vcc
	v_add_u32_e32 v2, v3, v2
	buffer_store_dwordx4 v[14:17], v2, s[0:3], 0 offen
	v_add_u32_e32 v2, 48, v19
	v_cmp_gt_i32_e32 vcc, s17, v2
	v_lshlrev_b32_e32 v1, 1, v1
	v_and_b32_e32 v6, 0xf8, v1
	v_cndmask_b32_e64 v2, v20, 0, vcc
	v_add3_u32 v2, v3, s5, v2
	buffer_store_dwordx4 v[10:13], v2, s[0:3], 0 offen
	v_or_b32_e32 v2, s4, v7
	v_add_u32_e32 v1, s31, v2
	v_mad_u64_u32 v[8:9], s[0:1], v1, s19, v[6:7]
	v_cmp_gt_i32_e32 vcc, s28, v1
	v_mov_b32_e32 v2, 0
	v_mov_b32_e32 v4, 0
	;; [unrolled: 1-line block ×3, first 2 shown]
	s_and_saveexec_b64 s[0:1], vcc
	s_cbranch_execz .LBB1_13
; %bb.12:
	v_lshlrev_b32_e32 v3, 1, v8
	s_lshl_b32 s10, s23, 1
	s_mov_b32 s11, s3
	buffer_load_dwordx2 v[4:5], v3, s[8:11], 0 offen
.LBB1_13:
	s_or_b64 exec, exec, s[0:1]
	v_add_u32_e32 v9, 16, v1
	s_lshl_b32 s16, s19, 4
	v_add_u32_e32 v3, s16, v8
	v_cmp_gt_i32_e64 s[0:1], s28, v9
	v_mov_b32_e32 v8, 0
	v_mov_b32_e32 v9, 0
	s_and_saveexec_b64 s[2:3], s[0:1]
	s_cbranch_execz .LBB1_15
; %bb.14:
	v_lshlrev_b32_e32 v8, 1, v3
	s_lshl_b32 s10, s23, 1
	s_mov_b32 s11, 0x20000
	buffer_load_dwordx2 v[8:9], v8, s[8:11], 0 offen
.LBB1_15:
	s_or_b64 exec, exec, s[2:3]
	v_add_u32_e32 v11, 32, v1
	v_add_u32_e32 v10, s16, v3
	v_cmp_gt_i32_e64 s[2:3], s28, v11
	v_mov_b32_e32 v3, 0
	s_and_saveexec_b64 s[4:5], s[2:3]
	s_cbranch_execz .LBB1_17
; %bb.16:
	v_lshlrev_b32_e32 v2, 1, v10
	s_lshl_b32 s10, s23, 1
	s_mov_b32 s11, 0x20000
	buffer_load_dwordx2 v[2:3], v2, s[8:11], 0 offen
.LBB1_17:
	s_or_b64 exec, exec, s[4:5]
	v_add_u32_e32 v11, 48, v1
	v_add_u32_e32 v1, s16, v10
	v_cmp_gt_i32_e64 s[4:5], s28, v11
	v_mov_b32_e32 v10, 0
	v_mov_b32_e32 v12, 0
	;; [unrolled: 1-line block ×3, first 2 shown]
	s_and_saveexec_b64 s[14:15], s[4:5]
	s_cbranch_execz .LBB1_19
; %bb.18:
	v_lshlrev_b32_e32 v11, 1, v1
	s_lshl_b32 s10, s23, 1
	s_mov_b32 s11, 0x20000
	buffer_load_dwordx2 v[12:13], v11, s[8:11], 0 offen
.LBB1_19:
	s_or_b64 exec, exec, s[14:15]
	s_mul_i32 s10, s19, 0xffffffd0
	v_add3_u32 v1, v1, s10, 4
	v_mov_b32_e32 v11, 0
	s_and_saveexec_b64 s[14:15], vcc
	s_cbranch_execz .LBB1_21
; %bb.20:
	v_lshlrev_b32_e32 v10, 1, v1
	s_lshl_b32 s10, s23, 1
	s_mov_b32 s11, 0x20000
	buffer_load_dwordx2 v[10:11], v10, s[8:11], 0 offen
.LBB1_21:
	s_or_b64 exec, exec, s[14:15]
	v_add_u32_e32 v1, s16, v1
	v_mov_b32_e32 v14, 0
	v_mov_b32_e32 v16, 0
	;; [unrolled: 1-line block ×3, first 2 shown]
	s_and_saveexec_b64 s[14:15], s[0:1]
	s_cbranch_execz .LBB1_23
; %bb.22:
	v_lshlrev_b32_e32 v15, 1, v1
	s_lshl_b32 s10, s23, 1
	s_mov_b32 s11, 0x20000
	buffer_load_dwordx2 v[16:17], v15, s[8:11], 0 offen
.LBB1_23:
	s_or_b64 exec, exec, s[14:15]
	v_add_u32_e32 v1, s16, v1
	v_mov_b32_e32 v15, 0
	s_and_saveexec_b64 s[0:1], s[2:3]
	s_cbranch_execz .LBB1_25
; %bb.24:
	v_lshlrev_b32_e32 v14, 1, v1
	s_lshl_b32 s10, s23, 1
	s_mov_b32 s11, 0x20000
	buffer_load_dwordx2 v[14:15], v14, s[8:11], 0 offen
.LBB1_25:
	s_or_b64 exec, exec, s[0:1]
	v_mov_b32_e32 v18, 0
	v_mov_b32_e32 v19, 0
	s_and_saveexec_b64 s[0:1], s[4:5]
	s_cbranch_execz .LBB1_27
; %bb.26:
	v_add_lshl_u32 v1, v1, s16, 1
	s_lshl_b32 s10, s23, 1
	s_mov_b32 s11, 0x20000
	buffer_load_dwordx2 v[18:19], v1, s[8:11], 0 offen
.LBB1_27:
	s_or_b64 exec, exec, s[0:1]
	s_mul_hi_i32 s1, s7, s26
	s_mul_i32 s0, s7, s26
	s_lshl_b64 s[0:1], s[0:1], 1
	s_add_u32 s2, s12, s0
	s_addc_u32 s3, s13, s1
	s_mul_hi_i32 s1, s6, s22
	s_mul_i32 s0, s6, s22
	s_lshl_b64 s[0:1], s[0:1], 1
	s_add_u32 s0, s2, s0
	v_readfirstlane_b32 s2, v0
	s_addc_u32 s1, s3, s1
	s_lshr_b32 s2, s2, 4
	s_and_b32 s2, s2, 0xffffffc
	v_or_b32_e32 v0, s2, v7
	v_add_u32_e32 v7, s20, v0
	s_mul_i32 s4, s18, s24
	v_mad_u64_u32 v[0:1], s[2:3], v7, s18, v[6:7]
	v_bfrev_b32_e32 v6, 1
	v_cmp_gt_i32_e32 vcc, s17, v7
	s_add_i32 s4, s4, s21
	v_lshlrev_b32_e32 v1, 1, v0
	v_cndmask_b32_e64 v20, v6, 0, vcc
	s_lshl_b32 s2, s4, 1
	s_mov_b32 s3, 0x20000
	v_add_u32_e32 v21, v1, v20
	s_waitcnt vmcnt(0)
	buffer_store_dwordx2 v[4:5], v21, s[0:3], 0 offen
	v_add_u32_e32 v4, 16, v7
	v_cmp_gt_i32_e32 vcc, s17, v4
	s_nop 1
	v_cndmask_b32_e64 v4, v6, 0, vcc
	v_lshl_add_u32 v4, s18, 5, v4
	v_add_u32_e32 v5, v4, v1
	buffer_store_dwordx2 v[8:9], v5, s[0:3], 0 offen
	v_add_u32_e32 v5, 32, v7
	v_cmp_gt_i32_e32 vcc, s17, v5
	s_nop 1
	v_cndmask_b32_e64 v5, v6, 0, vcc
	v_lshl_add_u32 v5, s18, 6, v5
	v_add_u32_e32 v1, v5, v1
	buffer_store_dwordx2 v[2:3], v1, s[0:3], 0 offen
	v_add_u32_e32 v2, 48, v7
	v_mad_u64_u32 v[0:1], s[4:5], s18, 48, v[0:1]
	v_cmp_gt_i32_e32 vcc, s17, v2
	s_mul_i32 s4, s18, 0x7fffffd0
	s_nop 0
	v_cndmask_b32_e64 v1, v6, 0, vcc
	v_lshl_add_u32 v2, v0, 1, v1
	v_add_u32_e32 v0, s4, v0
	v_lshl_add_u32 v0, v0, 1, 8
	buffer_store_dwordx2 v[12:13], v2, s[0:3], 0 offen
	v_add_u32_e32 v2, v0, v20
	buffer_store_dwordx2 v[10:11], v2, s[0:3], 0 offen
	v_add_u32_e32 v2, v0, v4
	s_mul_i32 s4, s18, 0x60
	buffer_store_dwordx2 v[16:17], v2, s[0:3], 0 offen
	v_add_u32_e32 v2, v0, v5
	v_add3_u32 v0, v1, s4, v0
	buffer_store_dwordx2 v[14:15], v2, s[0:3], 0 offen
	buffer_store_dwordx2 v[18:19], v0, s[0:3], 0 offen
.LBB1_28:
	s_endpgm
	.section	.rodata,"a",@progbits
	.p2align	6, 0x0
	.amdhsa_kernel _ZN7ck_tile6kentryINS_6gfx9_tELi2ENS_21FmhaFwdAppendKVKernelINS_28BlockFmhaFwdAppendKVPipelineINS_35BlockFmhaFwdAppendKVPipelineProblemIDF16_DF16_DF16_Li64ELi64ELi128ELi128ELb1ELNS_19RotaryEmbeddingEnumE0ELb0ENS_25TileFmhaFwdAppendKVTraitsILb0ELb1ELb0ELb0ELin1EEEEENS_41BlockFmhaFwdAppendKVPipelineDefaultPolicyEEEEEJNSB_5KargsEEEENSt9enable_ifIXnt26kattr_no_packed_fp32_ops_vIT_EEvE4typeEDpT2_
		.amdhsa_group_segment_fixed_size 0
		.amdhsa_private_segment_fixed_size 0
		.amdhsa_kernarg_size 144
		.amdhsa_user_sgpr_count 2
		.amdhsa_user_sgpr_dispatch_ptr 0
		.amdhsa_user_sgpr_queue_ptr 0
		.amdhsa_user_sgpr_kernarg_segment_ptr 1
		.amdhsa_user_sgpr_dispatch_id 0
		.amdhsa_user_sgpr_kernarg_preload_length 0
		.amdhsa_user_sgpr_kernarg_preload_offset 0
		.amdhsa_user_sgpr_private_segment_size 0
		.amdhsa_uses_dynamic_stack 0
		.amdhsa_enable_private_segment 0
		.amdhsa_system_sgpr_workgroup_id_x 1
		.amdhsa_system_sgpr_workgroup_id_y 1
		.amdhsa_system_sgpr_workgroup_id_z 1
		.amdhsa_system_sgpr_workgroup_info 0
		.amdhsa_system_vgpr_workitem_id 0
		.amdhsa_next_free_vgpr 22
		.amdhsa_next_free_sgpr 37
		.amdhsa_accum_offset 24
		.amdhsa_reserve_vcc 1
		.amdhsa_float_round_mode_32 0
		.amdhsa_float_round_mode_16_64 0
		.amdhsa_float_denorm_mode_32 0
		.amdhsa_float_denorm_mode_16_64 3
		.amdhsa_dx10_clamp 1
		.amdhsa_ieee_mode 1
		.amdhsa_fp16_overflow 0
		.amdhsa_tg_split 0
		.amdhsa_exception_fp_ieee_invalid_op 0
		.amdhsa_exception_fp_denorm_src 0
		.amdhsa_exception_fp_ieee_div_zero 0
		.amdhsa_exception_fp_ieee_overflow 0
		.amdhsa_exception_fp_ieee_underflow 0
		.amdhsa_exception_fp_ieee_inexact 0
		.amdhsa_exception_int_div_zero 0
	.end_amdhsa_kernel
	.section	.text._ZN7ck_tile6kentryINS_6gfx9_tELi2ENS_21FmhaFwdAppendKVKernelINS_28BlockFmhaFwdAppendKVPipelineINS_35BlockFmhaFwdAppendKVPipelineProblemIDF16_DF16_DF16_Li64ELi64ELi128ELi128ELb1ELNS_19RotaryEmbeddingEnumE0ELb0ENS_25TileFmhaFwdAppendKVTraitsILb0ELb1ELb0ELb0ELin1EEEEENS_41BlockFmhaFwdAppendKVPipelineDefaultPolicyEEEEEJNSB_5KargsEEEENSt9enable_ifIXnt26kattr_no_packed_fp32_ops_vIT_EEvE4typeEDpT2_,"axG",@progbits,_ZN7ck_tile6kentryINS_6gfx9_tELi2ENS_21FmhaFwdAppendKVKernelINS_28BlockFmhaFwdAppendKVPipelineINS_35BlockFmhaFwdAppendKVPipelineProblemIDF16_DF16_DF16_Li64ELi64ELi128ELi128ELb1ELNS_19RotaryEmbeddingEnumE0ELb0ENS_25TileFmhaFwdAppendKVTraitsILb0ELb1ELb0ELb0ELin1EEEEENS_41BlockFmhaFwdAppendKVPipelineDefaultPolicyEEEEEJNSB_5KargsEEEENSt9enable_ifIXnt26kattr_no_packed_fp32_ops_vIT_EEvE4typeEDpT2_,comdat
.Lfunc_end1:
	.size	_ZN7ck_tile6kentryINS_6gfx9_tELi2ENS_21FmhaFwdAppendKVKernelINS_28BlockFmhaFwdAppendKVPipelineINS_35BlockFmhaFwdAppendKVPipelineProblemIDF16_DF16_DF16_Li64ELi64ELi128ELi128ELb1ELNS_19RotaryEmbeddingEnumE0ELb0ENS_25TileFmhaFwdAppendKVTraitsILb0ELb1ELb0ELb0ELin1EEEEENS_41BlockFmhaFwdAppendKVPipelineDefaultPolicyEEEEEJNSB_5KargsEEEENSt9enable_ifIXnt26kattr_no_packed_fp32_ops_vIT_EEvE4typeEDpT2_, .Lfunc_end1-_ZN7ck_tile6kentryINS_6gfx9_tELi2ENS_21FmhaFwdAppendKVKernelINS_28BlockFmhaFwdAppendKVPipelineINS_35BlockFmhaFwdAppendKVPipelineProblemIDF16_DF16_DF16_Li64ELi64ELi128ELi128ELb1ELNS_19RotaryEmbeddingEnumE0ELb0ENS_25TileFmhaFwdAppendKVTraitsILb0ELb1ELb0ELb0ELin1EEEEENS_41BlockFmhaFwdAppendKVPipelineDefaultPolicyEEEEEJNSB_5KargsEEEENSt9enable_ifIXnt26kattr_no_packed_fp32_ops_vIT_EEvE4typeEDpT2_
                                        ; -- End function
	.set _ZN7ck_tile6kentryINS_6gfx9_tELi2ENS_21FmhaFwdAppendKVKernelINS_28BlockFmhaFwdAppendKVPipelineINS_35BlockFmhaFwdAppendKVPipelineProblemIDF16_DF16_DF16_Li64ELi64ELi128ELi128ELb1ELNS_19RotaryEmbeddingEnumE0ELb0ENS_25TileFmhaFwdAppendKVTraitsILb0ELb1ELb0ELb0ELin1EEEEENS_41BlockFmhaFwdAppendKVPipelineDefaultPolicyEEEEEJNSB_5KargsEEEENSt9enable_ifIXnt26kattr_no_packed_fp32_ops_vIT_EEvE4typeEDpT2_.num_vgpr, 22
	.set _ZN7ck_tile6kentryINS_6gfx9_tELi2ENS_21FmhaFwdAppendKVKernelINS_28BlockFmhaFwdAppendKVPipelineINS_35BlockFmhaFwdAppendKVPipelineProblemIDF16_DF16_DF16_Li64ELi64ELi128ELi128ELb1ELNS_19RotaryEmbeddingEnumE0ELb0ENS_25TileFmhaFwdAppendKVTraitsILb0ELb1ELb0ELb0ELin1EEEEENS_41BlockFmhaFwdAppendKVPipelineDefaultPolicyEEEEEJNSB_5KargsEEEENSt9enable_ifIXnt26kattr_no_packed_fp32_ops_vIT_EEvE4typeEDpT2_.num_agpr, 0
	.set _ZN7ck_tile6kentryINS_6gfx9_tELi2ENS_21FmhaFwdAppendKVKernelINS_28BlockFmhaFwdAppendKVPipelineINS_35BlockFmhaFwdAppendKVPipelineProblemIDF16_DF16_DF16_Li64ELi64ELi128ELi128ELb1ELNS_19RotaryEmbeddingEnumE0ELb0ENS_25TileFmhaFwdAppendKVTraitsILb0ELb1ELb0ELb0ELin1EEEEENS_41BlockFmhaFwdAppendKVPipelineDefaultPolicyEEEEEJNSB_5KargsEEEENSt9enable_ifIXnt26kattr_no_packed_fp32_ops_vIT_EEvE4typeEDpT2_.numbered_sgpr, 37
	.set _ZN7ck_tile6kentryINS_6gfx9_tELi2ENS_21FmhaFwdAppendKVKernelINS_28BlockFmhaFwdAppendKVPipelineINS_35BlockFmhaFwdAppendKVPipelineProblemIDF16_DF16_DF16_Li64ELi64ELi128ELi128ELb1ELNS_19RotaryEmbeddingEnumE0ELb0ENS_25TileFmhaFwdAppendKVTraitsILb0ELb1ELb0ELb0ELin1EEEEENS_41BlockFmhaFwdAppendKVPipelineDefaultPolicyEEEEEJNSB_5KargsEEEENSt9enable_ifIXnt26kattr_no_packed_fp32_ops_vIT_EEvE4typeEDpT2_.num_named_barrier, 0
	.set _ZN7ck_tile6kentryINS_6gfx9_tELi2ENS_21FmhaFwdAppendKVKernelINS_28BlockFmhaFwdAppendKVPipelineINS_35BlockFmhaFwdAppendKVPipelineProblemIDF16_DF16_DF16_Li64ELi64ELi128ELi128ELb1ELNS_19RotaryEmbeddingEnumE0ELb0ENS_25TileFmhaFwdAppendKVTraitsILb0ELb1ELb0ELb0ELin1EEEEENS_41BlockFmhaFwdAppendKVPipelineDefaultPolicyEEEEEJNSB_5KargsEEEENSt9enable_ifIXnt26kattr_no_packed_fp32_ops_vIT_EEvE4typeEDpT2_.private_seg_size, 0
	.set _ZN7ck_tile6kentryINS_6gfx9_tELi2ENS_21FmhaFwdAppendKVKernelINS_28BlockFmhaFwdAppendKVPipelineINS_35BlockFmhaFwdAppendKVPipelineProblemIDF16_DF16_DF16_Li64ELi64ELi128ELi128ELb1ELNS_19RotaryEmbeddingEnumE0ELb0ENS_25TileFmhaFwdAppendKVTraitsILb0ELb1ELb0ELb0ELin1EEEEENS_41BlockFmhaFwdAppendKVPipelineDefaultPolicyEEEEEJNSB_5KargsEEEENSt9enable_ifIXnt26kattr_no_packed_fp32_ops_vIT_EEvE4typeEDpT2_.uses_vcc, 1
	.set _ZN7ck_tile6kentryINS_6gfx9_tELi2ENS_21FmhaFwdAppendKVKernelINS_28BlockFmhaFwdAppendKVPipelineINS_35BlockFmhaFwdAppendKVPipelineProblemIDF16_DF16_DF16_Li64ELi64ELi128ELi128ELb1ELNS_19RotaryEmbeddingEnumE0ELb0ENS_25TileFmhaFwdAppendKVTraitsILb0ELb1ELb0ELb0ELin1EEEEENS_41BlockFmhaFwdAppendKVPipelineDefaultPolicyEEEEEJNSB_5KargsEEEENSt9enable_ifIXnt26kattr_no_packed_fp32_ops_vIT_EEvE4typeEDpT2_.uses_flat_scratch, 0
	.set _ZN7ck_tile6kentryINS_6gfx9_tELi2ENS_21FmhaFwdAppendKVKernelINS_28BlockFmhaFwdAppendKVPipelineINS_35BlockFmhaFwdAppendKVPipelineProblemIDF16_DF16_DF16_Li64ELi64ELi128ELi128ELb1ELNS_19RotaryEmbeddingEnumE0ELb0ENS_25TileFmhaFwdAppendKVTraitsILb0ELb1ELb0ELb0ELin1EEEEENS_41BlockFmhaFwdAppendKVPipelineDefaultPolicyEEEEEJNSB_5KargsEEEENSt9enable_ifIXnt26kattr_no_packed_fp32_ops_vIT_EEvE4typeEDpT2_.has_dyn_sized_stack, 0
	.set _ZN7ck_tile6kentryINS_6gfx9_tELi2ENS_21FmhaFwdAppendKVKernelINS_28BlockFmhaFwdAppendKVPipelineINS_35BlockFmhaFwdAppendKVPipelineProblemIDF16_DF16_DF16_Li64ELi64ELi128ELi128ELb1ELNS_19RotaryEmbeddingEnumE0ELb0ENS_25TileFmhaFwdAppendKVTraitsILb0ELb1ELb0ELb0ELin1EEEEENS_41BlockFmhaFwdAppendKVPipelineDefaultPolicyEEEEEJNSB_5KargsEEEENSt9enable_ifIXnt26kattr_no_packed_fp32_ops_vIT_EEvE4typeEDpT2_.has_recursion, 0
	.set _ZN7ck_tile6kentryINS_6gfx9_tELi2ENS_21FmhaFwdAppendKVKernelINS_28BlockFmhaFwdAppendKVPipelineINS_35BlockFmhaFwdAppendKVPipelineProblemIDF16_DF16_DF16_Li64ELi64ELi128ELi128ELb1ELNS_19RotaryEmbeddingEnumE0ELb0ENS_25TileFmhaFwdAppendKVTraitsILb0ELb1ELb0ELb0ELin1EEEEENS_41BlockFmhaFwdAppendKVPipelineDefaultPolicyEEEEEJNSB_5KargsEEEENSt9enable_ifIXnt26kattr_no_packed_fp32_ops_vIT_EEvE4typeEDpT2_.has_indirect_call, 0
	.section	.AMDGPU.csdata,"",@progbits
; Kernel info:
; codeLenInByte = 1760
; TotalNumSgprs: 43
; NumVgprs: 22
; NumAgprs: 0
; TotalNumVgprs: 22
; ScratchSize: 0
; MemoryBound: 0
; FloatMode: 192
; IeeeMode: 1
; LDSByteSize: 0 bytes/workgroup (compile time only)
; SGPRBlocks: 5
; VGPRBlocks: 2
; NumSGPRsForWavesPerEU: 43
; NumVGPRsForWavesPerEU: 22
; AccumOffset: 24
; Occupancy: 8
; WaveLimiterHint : 0
; COMPUTE_PGM_RSRC2:SCRATCH_EN: 0
; COMPUTE_PGM_RSRC2:USER_SGPR: 2
; COMPUTE_PGM_RSRC2:TRAP_HANDLER: 0
; COMPUTE_PGM_RSRC2:TGID_X_EN: 1
; COMPUTE_PGM_RSRC2:TGID_Y_EN: 1
; COMPUTE_PGM_RSRC2:TGID_Z_EN: 1
; COMPUTE_PGM_RSRC2:TIDIG_COMP_CNT: 0
; COMPUTE_PGM_RSRC3_GFX90A:ACCUM_OFFSET: 5
; COMPUTE_PGM_RSRC3_GFX90A:TG_SPLIT: 0
	.section	.AMDGPU.gpr_maximums,"",@progbits
	.set amdgpu.max_num_vgpr, 0
	.set amdgpu.max_num_agpr, 0
	.set amdgpu.max_num_sgpr, 0
	.section	.AMDGPU.csdata,"",@progbits
	.type	__hip_cuid_4f82b9385c30026b,@object ; @__hip_cuid_4f82b9385c30026b
	.section	.bss,"aw",@nobits
	.globl	__hip_cuid_4f82b9385c30026b
__hip_cuid_4f82b9385c30026b:
	.byte	0                               ; 0x0
	.size	__hip_cuid_4f82b9385c30026b, 1

	.ident	"AMD clang version 22.0.0git (https://github.com/RadeonOpenCompute/llvm-project roc-7.2.4 26084 f58b06dce1f9c15707c5f808fd002e18c2accf7e)"
	.section	".note.GNU-stack","",@progbits
	.addrsig
	.addrsig_sym __hip_cuid_4f82b9385c30026b
	.amdgpu_metadata
---
amdhsa.kernels:
  - .agpr_count:     0
    .args:           []
    .group_segment_fixed_size: 0
    .kernarg_segment_align: 4
    .kernarg_segment_size: 0
    .language:       OpenCL C
    .language_version:
      - 2
      - 0
    .max_flat_workgroup_size: 1024
    .name:           _ZN7ck_tileL11flush_cacheEv
    .private_segment_fixed_size: 0
    .sgpr_count:     6
    .sgpr_spill_count: 0
    .symbol:         _ZN7ck_tileL11flush_cacheEv.kd
    .uses_dynamic_stack: false
    .vgpr_count:     0
    .vgpr_spill_count: 0
    .wavefront_size: 64
  - .agpr_count:     0
    .args:
      - .offset:         0
        .size:           144
        .value_kind:     by_value
    .group_segment_fixed_size: 0
    .kernarg_segment_align: 8
    .kernarg_segment_size: 144
    .language:       OpenCL C
    .language_version:
      - 2
      - 0
    .max_flat_workgroup_size: 256
    .name:           _ZN7ck_tile6kentryINS_6gfx9_tELi2ENS_21FmhaFwdAppendKVKernelINS_28BlockFmhaFwdAppendKVPipelineINS_35BlockFmhaFwdAppendKVPipelineProblemIDF16_DF16_DF16_Li64ELi64ELi128ELi128ELb1ELNS_19RotaryEmbeddingEnumE0ELb0ENS_25TileFmhaFwdAppendKVTraitsILb0ELb1ELb0ELb0ELin1EEEEENS_41BlockFmhaFwdAppendKVPipelineDefaultPolicyEEEEEJNSB_5KargsEEEENSt9enable_ifIXnt26kattr_no_packed_fp32_ops_vIT_EEvE4typeEDpT2_
    .private_segment_fixed_size: 0
    .sgpr_count:     43
    .sgpr_spill_count: 0
    .symbol:         _ZN7ck_tile6kentryINS_6gfx9_tELi2ENS_21FmhaFwdAppendKVKernelINS_28BlockFmhaFwdAppendKVPipelineINS_35BlockFmhaFwdAppendKVPipelineProblemIDF16_DF16_DF16_Li64ELi64ELi128ELi128ELb1ELNS_19RotaryEmbeddingEnumE0ELb0ENS_25TileFmhaFwdAppendKVTraitsILb0ELb1ELb0ELb0ELin1EEEEENS_41BlockFmhaFwdAppendKVPipelineDefaultPolicyEEEEEJNSB_5KargsEEEENSt9enable_ifIXnt26kattr_no_packed_fp32_ops_vIT_EEvE4typeEDpT2_.kd
    .uses_dynamic_stack: false
    .vgpr_count:     22
    .vgpr_spill_count: 0
    .wavefront_size: 64
amdhsa.target:   amdgcn-amd-amdhsa--gfx950
amdhsa.version:
  - 1
  - 2
...

	.end_amdgpu_metadata
